;; amdgpu-corpus repo=ROCm/rocFFT kind=compiled arch=gfx1030 opt=O3
	.text
	.amdgcn_target "amdgcn-amd-amdhsa--gfx1030"
	.amdhsa_code_object_version 6
	.protected	fft_rtc_fwd_len1280_factors_16_5_16_wgs_80_tpt_80_halfLds_half_op_CI_CI_unitstride_sbrr_C2R_dirReg ; -- Begin function fft_rtc_fwd_len1280_factors_16_5_16_wgs_80_tpt_80_halfLds_half_op_CI_CI_unitstride_sbrr_C2R_dirReg
	.globl	fft_rtc_fwd_len1280_factors_16_5_16_wgs_80_tpt_80_halfLds_half_op_CI_CI_unitstride_sbrr_C2R_dirReg
	.p2align	8
	.type	fft_rtc_fwd_len1280_factors_16_5_16_wgs_80_tpt_80_halfLds_half_op_CI_CI_unitstride_sbrr_C2R_dirReg,@function
fft_rtc_fwd_len1280_factors_16_5_16_wgs_80_tpt_80_halfLds_half_op_CI_CI_unitstride_sbrr_C2R_dirReg: ; @fft_rtc_fwd_len1280_factors_16_5_16_wgs_80_tpt_80_halfLds_half_op_CI_CI_unitstride_sbrr_C2R_dirReg
; %bb.0:
	s_clause 0x2
	s_load_dwordx4 s[12:15], s[4:5], 0x0
	s_load_dwordx4 s[8:11], s[4:5], 0x58
	;; [unrolled: 1-line block ×3, first 2 shown]
	v_mul_u32_u24_e32 v1, 0x334, v0
	v_mov_b32_e32 v3, 0
	v_mov_b32_e32 v7, 0
	;; [unrolled: 1-line block ×3, first 2 shown]
	v_add_nc_u32_sdwa v9, s6, v1 dst_sel:DWORD dst_unused:UNUSED_PAD src0_sel:DWORD src1_sel:WORD_1
	v_mov_b32_e32 v10, v3
	s_waitcnt lgkmcnt(0)
	v_cmp_lt_u64_e64 s0, s[14:15], 2
	s_and_b32 vcc_lo, exec_lo, s0
	s_cbranch_vccnz .LBB0_8
; %bb.1:
	s_load_dwordx2 s[0:1], s[4:5], 0x10
	v_mov_b32_e32 v7, 0
	v_mov_b32_e32 v8, 0
	s_add_u32 s2, s18, 8
	s_addc_u32 s3, s19, 0
	v_mov_b32_e32 v1, v7
	s_add_u32 s6, s16, 8
	v_mov_b32_e32 v2, v8
	s_addc_u32 s7, s17, 0
	s_mov_b64 s[22:23], 1
	s_waitcnt lgkmcnt(0)
	s_add_u32 s20, s0, 8
	s_addc_u32 s21, s1, 0
.LBB0_2:                                ; =>This Inner Loop Header: Depth=1
	s_load_dwordx2 s[24:25], s[20:21], 0x0
                                        ; implicit-def: $vgpr5_vgpr6
	s_mov_b32 s0, exec_lo
	s_waitcnt lgkmcnt(0)
	v_or_b32_e32 v4, s25, v10
	v_cmpx_ne_u64_e32 0, v[3:4]
	s_xor_b32 s1, exec_lo, s0
	s_cbranch_execz .LBB0_4
; %bb.3:                                ;   in Loop: Header=BB0_2 Depth=1
	v_cvt_f32_u32_e32 v4, s24
	v_cvt_f32_u32_e32 v5, s25
	s_sub_u32 s0, 0, s24
	s_subb_u32 s26, 0, s25
	v_fmac_f32_e32 v4, 0x4f800000, v5
	v_rcp_f32_e32 v4, v4
	v_mul_f32_e32 v4, 0x5f7ffffc, v4
	v_mul_f32_e32 v5, 0x2f800000, v4
	v_trunc_f32_e32 v5, v5
	v_fmac_f32_e32 v4, 0xcf800000, v5
	v_cvt_u32_f32_e32 v5, v5
	v_cvt_u32_f32_e32 v4, v4
	v_mul_lo_u32 v6, s0, v5
	v_mul_hi_u32 v11, s0, v4
	v_mul_lo_u32 v12, s26, v4
	v_add_nc_u32_e32 v6, v11, v6
	v_mul_lo_u32 v11, s0, v4
	v_add_nc_u32_e32 v6, v6, v12
	v_mul_hi_u32 v12, v4, v11
	v_mul_lo_u32 v13, v4, v6
	v_mul_hi_u32 v14, v4, v6
	v_mul_hi_u32 v15, v5, v11
	v_mul_lo_u32 v11, v5, v11
	v_mul_hi_u32 v16, v5, v6
	v_mul_lo_u32 v6, v5, v6
	v_add_co_u32 v12, vcc_lo, v12, v13
	v_add_co_ci_u32_e32 v13, vcc_lo, 0, v14, vcc_lo
	v_add_co_u32 v11, vcc_lo, v12, v11
	v_add_co_ci_u32_e32 v11, vcc_lo, v13, v15, vcc_lo
	v_add_co_ci_u32_e32 v12, vcc_lo, 0, v16, vcc_lo
	v_add_co_u32 v6, vcc_lo, v11, v6
	v_add_co_ci_u32_e32 v11, vcc_lo, 0, v12, vcc_lo
	v_add_co_u32 v4, vcc_lo, v4, v6
	v_add_co_ci_u32_e32 v5, vcc_lo, v5, v11, vcc_lo
	v_mul_hi_u32 v6, s0, v4
	v_mul_lo_u32 v12, s26, v4
	v_mul_lo_u32 v11, s0, v5
	v_add_nc_u32_e32 v6, v6, v11
	v_mul_lo_u32 v11, s0, v4
	v_add_nc_u32_e32 v6, v6, v12
	v_mul_hi_u32 v12, v4, v11
	v_mul_lo_u32 v13, v4, v6
	v_mul_hi_u32 v14, v4, v6
	v_mul_hi_u32 v15, v5, v11
	v_mul_lo_u32 v11, v5, v11
	v_mul_hi_u32 v16, v5, v6
	v_mul_lo_u32 v6, v5, v6
	v_add_co_u32 v12, vcc_lo, v12, v13
	v_add_co_ci_u32_e32 v13, vcc_lo, 0, v14, vcc_lo
	v_add_co_u32 v11, vcc_lo, v12, v11
	v_add_co_ci_u32_e32 v11, vcc_lo, v13, v15, vcc_lo
	v_add_co_ci_u32_e32 v12, vcc_lo, 0, v16, vcc_lo
	v_add_co_u32 v6, vcc_lo, v11, v6
	v_add_co_ci_u32_e32 v11, vcc_lo, 0, v12, vcc_lo
	v_add_co_u32 v6, vcc_lo, v4, v6
	v_add_co_ci_u32_e32 v13, vcc_lo, v5, v11, vcc_lo
	v_mul_hi_u32 v15, v9, v6
	v_mad_u64_u32 v[11:12], null, v10, v6, 0
	v_mad_u64_u32 v[4:5], null, v9, v13, 0
	;; [unrolled: 1-line block ×3, first 2 shown]
	v_add_co_u32 v4, vcc_lo, v15, v4
	v_add_co_ci_u32_e32 v5, vcc_lo, 0, v5, vcc_lo
	v_add_co_u32 v4, vcc_lo, v4, v11
	v_add_co_ci_u32_e32 v4, vcc_lo, v5, v12, vcc_lo
	v_add_co_ci_u32_e32 v5, vcc_lo, 0, v14, vcc_lo
	v_add_co_u32 v11, vcc_lo, v4, v13
	v_add_co_ci_u32_e32 v6, vcc_lo, 0, v5, vcc_lo
	v_mul_lo_u32 v12, s25, v11
	v_mad_u64_u32 v[4:5], null, s24, v11, 0
	v_mul_lo_u32 v13, s24, v6
	v_sub_co_u32 v4, vcc_lo, v9, v4
	v_add3_u32 v5, v5, v13, v12
	v_sub_nc_u32_e32 v12, v10, v5
	v_subrev_co_ci_u32_e64 v12, s0, s25, v12, vcc_lo
	v_add_co_u32 v13, s0, v11, 2
	v_add_co_ci_u32_e64 v14, s0, 0, v6, s0
	v_sub_co_u32 v15, s0, v4, s24
	v_sub_co_ci_u32_e32 v5, vcc_lo, v10, v5, vcc_lo
	v_subrev_co_ci_u32_e64 v12, s0, 0, v12, s0
	v_cmp_le_u32_e32 vcc_lo, s24, v15
	v_cmp_eq_u32_e64 s0, s25, v5
	v_cndmask_b32_e64 v15, 0, -1, vcc_lo
	v_cmp_le_u32_e32 vcc_lo, s25, v12
	v_cndmask_b32_e64 v16, 0, -1, vcc_lo
	v_cmp_le_u32_e32 vcc_lo, s24, v4
	;; [unrolled: 2-line block ×3, first 2 shown]
	v_cndmask_b32_e64 v17, 0, -1, vcc_lo
	v_cmp_eq_u32_e32 vcc_lo, s25, v12
	v_cndmask_b32_e64 v4, v17, v4, s0
	v_cndmask_b32_e32 v12, v16, v15, vcc_lo
	v_add_co_u32 v15, vcc_lo, v11, 1
	v_add_co_ci_u32_e32 v16, vcc_lo, 0, v6, vcc_lo
	v_cmp_ne_u32_e32 vcc_lo, 0, v12
	v_cndmask_b32_e32 v5, v16, v14, vcc_lo
	v_cndmask_b32_e32 v12, v15, v13, vcc_lo
	v_cmp_ne_u32_e32 vcc_lo, 0, v4
	v_cndmask_b32_e32 v6, v6, v5, vcc_lo
	v_cndmask_b32_e32 v5, v11, v12, vcc_lo
.LBB0_4:                                ;   in Loop: Header=BB0_2 Depth=1
	s_andn2_saveexec_b32 s0, s1
	s_cbranch_execz .LBB0_6
; %bb.5:                                ;   in Loop: Header=BB0_2 Depth=1
	v_cvt_f32_u32_e32 v4, s24
	s_sub_i32 s1, 0, s24
	v_rcp_iflag_f32_e32 v4, v4
	v_mul_f32_e32 v4, 0x4f7ffffe, v4
	v_cvt_u32_f32_e32 v4, v4
	v_mul_lo_u32 v5, s1, v4
	v_mul_hi_u32 v5, v4, v5
	v_add_nc_u32_e32 v4, v4, v5
	v_mul_hi_u32 v4, v9, v4
	v_mul_lo_u32 v5, v4, s24
	v_add_nc_u32_e32 v6, 1, v4
	v_sub_nc_u32_e32 v5, v9, v5
	v_subrev_nc_u32_e32 v11, s24, v5
	v_cmp_le_u32_e32 vcc_lo, s24, v5
	v_cndmask_b32_e32 v5, v5, v11, vcc_lo
	v_cndmask_b32_e32 v4, v4, v6, vcc_lo
	v_cmp_le_u32_e32 vcc_lo, s24, v5
	v_add_nc_u32_e32 v6, 1, v4
	v_cndmask_b32_e32 v5, v4, v6, vcc_lo
	v_mov_b32_e32 v6, v3
.LBB0_6:                                ;   in Loop: Header=BB0_2 Depth=1
	s_or_b32 exec_lo, exec_lo, s0
	v_mul_lo_u32 v4, v6, s24
	v_mul_lo_u32 v13, v5, s25
	s_load_dwordx2 s[0:1], s[6:7], 0x0
	v_mad_u64_u32 v[11:12], null, v5, s24, 0
	s_load_dwordx2 s[24:25], s[2:3], 0x0
	s_add_u32 s22, s22, 1
	s_addc_u32 s23, s23, 0
	s_add_u32 s2, s2, 8
	s_addc_u32 s3, s3, 0
	s_add_u32 s6, s6, 8
	v_add3_u32 v4, v12, v13, v4
	v_sub_co_u32 v9, vcc_lo, v9, v11
	s_addc_u32 s7, s7, 0
	s_add_u32 s20, s20, 8
	v_sub_co_ci_u32_e32 v4, vcc_lo, v10, v4, vcc_lo
	s_addc_u32 s21, s21, 0
	s_waitcnt lgkmcnt(0)
	v_mul_lo_u32 v10, s0, v4
	v_mul_lo_u32 v11, s1, v9
	v_mad_u64_u32 v[7:8], null, s0, v9, v[7:8]
	v_mul_lo_u32 v4, s24, v4
	v_mul_lo_u32 v12, s25, v9
	v_mad_u64_u32 v[1:2], null, s24, v9, v[1:2]
	v_cmp_ge_u64_e64 s0, s[22:23], s[14:15]
	v_add3_u32 v8, v11, v8, v10
	v_add3_u32 v2, v12, v2, v4
	s_and_b32 vcc_lo, exec_lo, s0
	s_cbranch_vccnz .LBB0_9
; %bb.7:                                ;   in Loop: Header=BB0_2 Depth=1
	v_mov_b32_e32 v10, v6
	v_mov_b32_e32 v9, v5
	s_branch .LBB0_2
.LBB0_8:
	v_mov_b32_e32 v1, v7
	v_mov_b32_e32 v5, v9
	;; [unrolled: 1-line block ×4, first 2 shown]
.LBB0_9:
	s_load_dwordx2 s[0:1], s[4:5], 0x28
	v_mul_hi_u32 v4, 0x3333334, v0
	s_lshl_b64 s[4:5], s[14:15], 3
                                        ; implicit-def: $vgpr3
	s_add_u32 s2, s18, s4
	s_addc_u32 s3, s19, s5
	s_waitcnt lgkmcnt(0)
	v_cmp_gt_u64_e32 vcc_lo, s[0:1], v[5:6]
	v_cmp_le_u64_e64 s0, s[0:1], v[5:6]
	s_and_saveexec_b32 s1, s0
	s_xor_b32 s0, exec_lo, s1
; %bb.10:
	v_mul_u32_u24_e32 v3, 0x50, v4
                                        ; implicit-def: $vgpr4
                                        ; implicit-def: $vgpr7_vgpr8
	v_sub_nc_u32_e32 v3, v0, v3
                                        ; implicit-def: $vgpr0
; %bb.11:
	s_or_saveexec_b32 s1, s0
	s_load_dwordx2 s[2:3], s[2:3], 0x0
	s_xor_b32 exec_lo, exec_lo, s1
	s_cbranch_execz .LBB0_15
; %bb.12:
	s_add_u32 s4, s16, s4
	s_addc_u32 s5, s17, s5
	v_lshlrev_b64 v[7:8], 2, v[7:8]
	s_load_dwordx2 s[4:5], s[4:5], 0x0
	s_waitcnt lgkmcnt(0)
	v_mul_lo_u32 v3, s5, v5
	v_mul_lo_u32 v11, s4, v6
	v_mad_u64_u32 v[9:10], null, s4, v5, 0
	s_mov_b32 s4, exec_lo
	v_add3_u32 v10, v10, v11, v3
	v_mul_u32_u24_e32 v3, 0x50, v4
	v_lshlrev_b64 v[9:10], 2, v[9:10]
	v_sub_nc_u32_e32 v3, v0, v3
	v_lshlrev_b32_e32 v15, 2, v3
	v_add_co_u32 v0, s0, s8, v9
	v_add_co_ci_u32_e64 v4, s0, s9, v10, s0
	v_or_b32_e32 v9, 0xa00, v15
	v_add_co_u32 v0, s0, v0, v7
	v_add_co_ci_u32_e64 v4, s0, v4, v8, s0
	v_add_co_u32 v7, s0, v0, v15
	v_add_co_ci_u32_e64 v8, s0, 0, v4, s0
	;; [unrolled: 2-line block ×5, first 2 shown]
	s_clause 0xf
	global_load_dword v16, v[7:8], off
	global_load_dword v17, v[7:8], off offset:320
	global_load_dword v18, v[7:8], off offset:640
	global_load_dword v19, v[7:8], off offset:960
	global_load_dword v20, v[7:8], off offset:1280
	global_load_dword v21, v[7:8], off offset:1600
	global_load_dword v7, v[7:8], off offset:1920
	global_load_dword v8, v[11:12], off offset:192
	global_load_dword v22, v[11:12], off offset:832
	global_load_dword v23, v[11:12], off offset:1152
	global_load_dword v24, v[11:12], off offset:1472
	global_load_dword v9, v[9:10], off
	global_load_dword v10, v[13:14], off offset:64
	global_load_dword v25, v[13:14], off offset:384
	;; [unrolled: 1-line block ×4, first 2 shown]
	v_add_nc_u32_e32 v12, 0, v15
	v_add_nc_u32_e32 v14, 0x400, v12
	;; [unrolled: 1-line block ×7, first 2 shown]
	s_waitcnt vmcnt(14)
	ds_write2_b32 v12, v16, v17 offset1:80
	s_waitcnt vmcnt(12)
	ds_write2_b32 v12, v18, v19 offset0:160 offset1:240
	s_waitcnt vmcnt(10)
	ds_write2_b32 v14, v20, v21 offset0:64 offset1:144
	;; [unrolled: 2-line block ×4, first 2 shown]
	ds_write2_b32 v27, v23, v24 offset0:32 offset1:112
	s_waitcnt vmcnt(0)
	ds_write2_b32 v28, v11, v10 offset0:64 offset1:144
	ds_write2_b32 v29, v25, v13 offset0:96 offset1:176
	v_cmpx_eq_u32_e32 0x4f, v3
	s_cbranch_execz .LBB0_14
; %bb.13:
	v_add_co_u32 v3, s0, 0x1000, v0
	v_add_co_ci_u32_e64 v4, s0, 0, v4, s0
	global_load_dword v0, v[3:4], off offset:1024
	v_mov_b32_e32 v4, 0
	v_mov_b32_e32 v3, 0x4f
	s_waitcnt vmcnt(0)
	ds_write_b32 v4, v0 offset:5120
.LBB0_14:
	s_or_b32 exec_lo, exec_lo, s4
.LBB0_15:
	s_or_b32 exec_lo, exec_lo, s1
	v_lshlrev_b32_e32 v4, 2, v3
	s_waitcnt lgkmcnt(0)
	s_barrier
	buffer_gl0_inv
	s_add_u32 s1, s12, 0x13c0
	v_add_nc_u32_e32 v0, 0, v4
	v_sub_nc_u32_e32 v9, 0, v4
	s_addc_u32 s4, s13, 0
	s_mov_b32 s5, exec_lo
                                        ; implicit-def: $vgpr7_vgpr8
	ds_read_u16 v12, v0
	ds_read_u16 v13, v9 offset:5120
	s_waitcnt lgkmcnt(0)
	v_add_f16_e32 v11, v13, v12
	v_sub_f16_e32 v10, v12, v13
	v_cmpx_ne_u32_e32 0, v3
	s_xor_b32 s5, exec_lo, s5
	s_cbranch_execz .LBB0_17
; %bb.16:
	v_mov_b32_e32 v4, 0
	v_add_f16_e32 v11, v13, v12
	v_sub_f16_e32 v12, v12, v13
	v_lshlrev_b64 v[7:8], 2, v[3:4]
	v_add_co_u32 v7, s0, s1, v7
	v_add_co_ci_u32_e64 v8, s0, s4, v8, s0
	global_load_dword v7, v[7:8], off
	ds_read_u16 v8, v9 offset:5122
	ds_read_u16 v10, v0 offset:2
	s_waitcnt lgkmcnt(0)
	v_add_f16_e32 v13, v8, v10
	v_sub_f16_e32 v8, v10, v8
	s_waitcnt vmcnt(0)
	v_lshrrev_b32_e32 v14, 16, v7
	v_fma_f16 v15, -v12, v14, v11
	v_fma_f16 v16, v13, v14, -v8
	v_fma_f16 v10, v13, v14, v8
	v_fma_f16 v11, v12, v14, v11
	v_fmac_f16_e32 v15, v7, v13
	v_fmac_f16_e32 v16, v12, v7
	;; [unrolled: 1-line block ×3, first 2 shown]
	v_fma_f16 v11, -v7, v13, v11
	v_mov_b32_e32 v8, v4
	v_mov_b32_e32 v7, v3
	v_pack_b32_f16 v12, v15, v16
	ds_write_b32 v9, v12 offset:5120
.LBB0_17:
	s_andn2_saveexec_b32 s0, s5
	s_cbranch_execz .LBB0_19
; %bb.18:
	v_mov_b32_e32 v4, 0
	ds_read_b32 v7, v4 offset:2560
	s_waitcnt lgkmcnt(0)
	v_pk_mul_f16 v12, 0xc0004000, v7
	v_mov_b32_e32 v7, 0
	v_mov_b32_e32 v8, 0
	ds_write_b32 v4, v12 offset:2560
.LBB0_19:
	s_or_b32 exec_lo, exec_lo, s0
	v_lshlrev_b64 v[7:8], 2, v[7:8]
	v_add_nc_u32_e32 v26, 0x400, v0
	v_add_nc_u32_e32 v24, 0x800, v0
	;; [unrolled: 1-line block ×5, first 2 shown]
	v_add_co_u32 v7, s0, s1, v7
	v_add_co_ci_u32_e64 v8, s0, s4, v8, s0
	v_add_nc_u32_e32 v30, 0xa00, v0
	s_clause 0x5
	global_load_dword v4, v[7:8], off offset:320
	global_load_dword v12, v[7:8], off offset:640
	;; [unrolled: 1-line block ×6, first 2 shown]
	v_add_co_u32 v7, s0, 0x800, v7
	v_add_co_ci_u32_e64 v8, s0, 0, v8, s0
	v_cmp_gt_u32_e64 s0, 16, v3
	global_load_dword v7, v[7:8], off offset:192
	v_perm_b32 v8, v10, v11, 0x5040100
	ds_write_b32 v0, v8
	ds_read_b32 v8, v0 offset:320
	ds_read_b32 v10, v9 offset:4800
	s_waitcnt lgkmcnt(0)
	v_add_f16_e32 v11, v8, v10
	v_add_f16_sdwa v17, v10, v8 dst_sel:DWORD dst_unused:UNUSED_PAD src0_sel:WORD_1 src1_sel:WORD_1
	v_sub_f16_e32 v18, v8, v10
	v_sub_f16_sdwa v8, v8, v10 dst_sel:DWORD dst_unused:UNUSED_PAD src0_sel:WORD_1 src1_sel:WORD_1
	s_waitcnt vmcnt(6)
	v_lshrrev_b32_e32 v19, 16, v4
	v_fma_f16 v10, v18, v19, v11
	v_fma_f16 v20, v17, v19, v8
	v_fma_f16 v11, -v18, v19, v11
	v_fma_f16 v8, v17, v19, -v8
	v_fma_f16 v10, -v4, v17, v10
	v_fmac_f16_e32 v20, v18, v4
	v_fmac_f16_e32 v11, v4, v17
	;; [unrolled: 1-line block ×3, first 2 shown]
	v_pack_b32_f16 v4, v10, v20
	s_waitcnt vmcnt(5)
	v_lshrrev_b32_e32 v10, 16, v12
	v_pack_b32_f16 v8, v11, v8
	ds_write_b32 v0, v4 offset:320
	ds_write_b32 v9, v8 offset:4800
	ds_read_b32 v4, v0 offset:640
	ds_read_b32 v8, v9 offset:4480
	s_waitcnt lgkmcnt(0)
	v_add_f16_e32 v11, v4, v8
	v_add_f16_sdwa v17, v8, v4 dst_sel:DWORD dst_unused:UNUSED_PAD src0_sel:WORD_1 src1_sel:WORD_1
	v_sub_f16_e32 v18, v4, v8
	v_sub_f16_sdwa v4, v4, v8 dst_sel:DWORD dst_unused:UNUSED_PAD src0_sel:WORD_1 src1_sel:WORD_1
	v_fma_f16 v8, v18, v10, v11
	v_fma_f16 v19, v17, v10, v4
	v_fma_f16 v11, -v18, v10, v11
	v_fma_f16 v4, v17, v10, -v4
	s_waitcnt vmcnt(4)
	v_lshrrev_b32_e32 v10, 16, v13
	v_fma_f16 v8, -v12, v17, v8
	v_fmac_f16_e32 v19, v18, v12
	v_fmac_f16_e32 v11, v12, v17
	;; [unrolled: 1-line block ×3, first 2 shown]
	v_pack_b32_f16 v8, v8, v19
	v_pack_b32_f16 v4, v11, v4
	ds_write_b32 v0, v8 offset:640
	ds_write_b32 v9, v4 offset:4480
	ds_read_b32 v4, v0 offset:960
	ds_read_b32 v8, v9 offset:4160
	s_waitcnt lgkmcnt(0)
	v_add_f16_e32 v11, v4, v8
	v_add_f16_sdwa v12, v8, v4 dst_sel:DWORD dst_unused:UNUSED_PAD src0_sel:WORD_1 src1_sel:WORD_1
	v_sub_f16_e32 v17, v4, v8
	v_sub_f16_sdwa v4, v4, v8 dst_sel:DWORD dst_unused:UNUSED_PAD src0_sel:WORD_1 src1_sel:WORD_1
	v_fma_f16 v8, v17, v10, v11
	v_fma_f16 v18, v12, v10, v4
	v_fma_f16 v11, -v17, v10, v11
	v_fma_f16 v4, v12, v10, -v4
	s_waitcnt vmcnt(3)
	v_lshrrev_b32_e32 v10, 16, v14
	v_fma_f16 v8, -v13, v12, v8
	v_fmac_f16_e32 v18, v17, v13
	v_fmac_f16_e32 v11, v13, v12
	;; [unrolled: 1-line block ×3, first 2 shown]
	v_pack_b32_f16 v8, v8, v18
	v_add_nc_u32_e32 v18, 0xe00, v0
	v_pack_b32_f16 v4, v11, v4
	ds_write_b32 v0, v8 offset:960
	ds_write_b32 v9, v4 offset:4160
	ds_read_b32 v4, v0 offset:1280
	ds_read_b32 v8, v9 offset:3840
	s_waitcnt lgkmcnt(0)
	v_add_f16_e32 v11, v4, v8
	v_add_f16_sdwa v12, v8, v4 dst_sel:DWORD dst_unused:UNUSED_PAD src0_sel:WORD_1 src1_sel:WORD_1
	v_sub_f16_e32 v13, v4, v8
	v_sub_f16_sdwa v4, v4, v8 dst_sel:DWORD dst_unused:UNUSED_PAD src0_sel:WORD_1 src1_sel:WORD_1
	v_fma_f16 v8, v13, v10, v11
	v_fma_f16 v17, v12, v10, v4
	v_fma_f16 v11, -v13, v10, v11
	v_fma_f16 v4, v12, v10, -v4
	s_waitcnt vmcnt(2)
	v_lshrrev_b32_e32 v10, 16, v15
	v_fma_f16 v8, -v14, v12, v8
	v_fmac_f16_e32 v17, v13, v14
	v_fmac_f16_e32 v11, v14, v12
	v_fmac_f16_e32 v4, v13, v14
	v_pack_b32_f16 v8, v8, v17
	v_pack_b32_f16 v4, v11, v4
	ds_write_b32 v0, v8 offset:1280
	ds_write_b32 v9, v4 offset:3840
	ds_read_b32 v4, v0 offset:1600
	ds_read_b32 v8, v9 offset:3520
	s_waitcnt lgkmcnt(0)
	v_add_f16_e32 v11, v4, v8
	v_add_f16_sdwa v12, v8, v4 dst_sel:DWORD dst_unused:UNUSED_PAD src0_sel:WORD_1 src1_sel:WORD_1
	v_sub_f16_e32 v13, v4, v8
	v_sub_f16_sdwa v4, v4, v8 dst_sel:DWORD dst_unused:UNUSED_PAD src0_sel:WORD_1 src1_sel:WORD_1
	v_fma_f16 v8, v13, v10, v11
	v_fma_f16 v14, v12, v10, v4
	v_fma_f16 v11, -v13, v10, v11
	v_fma_f16 v4, v12, v10, -v4
	s_waitcnt vmcnt(1)
	v_lshrrev_b32_e32 v10, 16, v16
	v_fma_f16 v8, -v15, v12, v8
	v_fmac_f16_e32 v14, v13, v15
	v_fmac_f16_e32 v11, v15, v12
	v_fmac_f16_e32 v4, v13, v15
	v_pack_b32_f16 v8, v8, v14
	;; [unrolled: 21-line block ×3, first 2 shown]
	v_pack_b32_f16 v4, v11, v4
	ds_write_b32 v0, v8 offset:1920
	ds_write_b32 v9, v4 offset:3200
	ds_read_b32 v4, v0 offset:2240
	ds_read_b32 v8, v9 offset:2880
	s_waitcnt lgkmcnt(0)
	v_add_f16_e32 v11, v4, v8
	v_add_f16_sdwa v12, v8, v4 dst_sel:DWORD dst_unused:UNUSED_PAD src0_sel:WORD_1 src1_sel:WORD_1
	v_sub_f16_e32 v13, v4, v8
	v_sub_f16_sdwa v4, v4, v8 dst_sel:DWORD dst_unused:UNUSED_PAD src0_sel:WORD_1 src1_sel:WORD_1
	v_fma_f16 v8, v13, v10, v11
	v_fma_f16 v14, v12, v10, v4
	v_fma_f16 v11, -v13, v10, v11
	v_fma_f16 v4, v12, v10, -v4
	v_fma_f16 v8, -v7, v12, v8
	v_fmac_f16_e32 v14, v13, v7
	v_fmac_f16_e32 v11, v7, v12
	;; [unrolled: 1-line block ×3, first 2 shown]
	v_add_nc_u32_e32 v7, 0x600, v0
	v_pack_b32_f16 v8, v8, v14
	v_pack_b32_f16 v4, v11, v4
	ds_write_b32 v0, v8 offset:2240
	ds_write_b32 v9, v4 offset:2880
	s_waitcnt lgkmcnt(0)
	s_barrier
	buffer_gl0_inv
	s_barrier
	buffer_gl0_inv
	ds_read2_b32 v[8:9], v0 offset1:80
	ds_read2_b32 v[10:11], v0 offset0:160 offset1:240
	ds_read2_b32 v[12:13], v26 offset0:64 offset1:144
	;; [unrolled: 1-line block ×7, first 2 shown]
	v_mad_u32_u24 v7, v3, 60, v0
	s_waitcnt lgkmcnt(0)
	s_barrier
	buffer_gl0_inv
	v_pk_add_f16 v4, v8, v16 neg_lo:[0,1] neg_hi:[0,1]
	v_pk_add_f16 v16, v12, v18 neg_lo:[0,1] neg_hi:[0,1]
	;; [unrolled: 1-line block ×8, first 2 shown]
	v_pk_fma_f16 v10, v10, 2.0, v18 op_sel_hi:[1,0,1] neg_lo:[0,0,1] neg_hi:[0,0,1]
	v_pk_fma_f16 v14, v14, 2.0, v20 op_sel_hi:[1,0,1] neg_lo:[0,0,1] neg_hi:[0,0,1]
	v_sub_f16_sdwa v23, v4, v16 dst_sel:DWORD dst_unused:UNUSED_PAD src0_sel:DWORD src1_sel:WORD_1
	v_lshrrev_b32_e32 v25, 16, v4
	v_lshrrev_b32_e32 v32, 16, v18
	;; [unrolled: 1-line block ×4, first 2 shown]
	v_pk_fma_f16 v8, v8, 2.0, v4 op_sel_hi:[1,0,1] neg_lo:[0,0,1] neg_hi:[0,0,1]
	v_pk_fma_f16 v12, v12, 2.0, v16 op_sel_hi:[1,0,1] neg_lo:[0,0,1] neg_hi:[0,0,1]
	v_pk_fma_f16 v9, v9, 2.0, v17 op_sel_hi:[1,0,1] neg_lo:[0,0,1] neg_hi:[0,0,1]
	v_pk_fma_f16 v13, v13, 2.0, v19 op_sel_hi:[1,0,1] neg_lo:[0,0,1] neg_hi:[0,0,1]
	v_pk_fma_f16 v11, v11, 2.0, v21 op_sel_hi:[1,0,1] neg_lo:[0,0,1] neg_hi:[0,0,1]
	v_pk_fma_f16 v15, v15, 2.0, v22 op_sel_hi:[1,0,1] neg_lo:[0,0,1] neg_hi:[0,0,1]
	v_sub_f16_sdwa v31, v18, v20 dst_sel:DWORD dst_unused:UNUSED_PAD src0_sel:DWORD src1_sel:WORD_1
	v_sub_f16_sdwa v33, v17, v19 dst_sel:DWORD dst_unused:UNUSED_PAD src0_sel:DWORD src1_sel:WORD_1
	;; [unrolled: 1-line block ×3, first 2 shown]
	v_add_f16_e32 v16, v25, v16
	v_fma_f16 v37, v4, 2.0, -v23
	v_pk_add_f16 v4, v10, v14 neg_lo:[0,1] neg_hi:[0,1]
	v_add_f16_e32 v14, v32, v20
	v_add_f16_e32 v19, v34, v19
	;; [unrolled: 1-line block ×3, first 2 shown]
	v_pk_add_f16 v12, v8, v12 neg_lo:[0,1] neg_hi:[0,1]
	v_fma_f16 v18, v18, 2.0, -v31
	v_pk_add_f16 v13, v9, v13 neg_lo:[0,1] neg_hi:[0,1]
	v_fma_f16 v17, v17, 2.0, -v33
	;; [unrolled: 2-line block ×3, first 2 shown]
	v_fmamk_f16 v22, v31, 0x39a8, v23
	v_fmamk_f16 v38, v35, 0x39a8, v33
	v_fma_f16 v39, v25, 2.0, -v16
	v_fma_f16 v25, v32, 2.0, -v14
	v_fma_f16 v32, v34, 2.0, -v19
	v_fma_f16 v34, v36, 2.0, -v20
	v_fmamk_f16 v42, v14, 0x39a8, v16
	v_fmamk_f16 v36, v18, 0xb9a8, v37
	v_sub_f16_sdwa v40, v12, v4 dst_sel:DWORD dst_unused:UNUSED_PAD src0_sel:DWORD src1_sel:WORD_1
	v_lshrrev_b32_e32 v41, 16, v12
	v_fmac_f16_e32 v22, 0xb9a8, v14
	v_fmamk_f16 v14, v21, 0xb9a8, v17
	v_sub_f16_sdwa v43, v13, v15 dst_sel:DWORD dst_unused:UNUSED_PAD src0_sel:DWORD src1_sel:WORD_1
	v_lshrrev_b32_e32 v44, 16, v13
	v_fmamk_f16 v45, v20, 0x39a8, v19
	v_fmac_f16_e32 v38, 0xb9a8, v20
	v_fmamk_f16 v20, v25, 0xb9a8, v39
	v_fmac_f16_e32 v42, 0x39a8, v31
	v_fmamk_f16 v31, v34, 0xb9a8, v32
	v_pk_fma_f16 v8, v8, 2.0, v12 op_sel_hi:[1,0,1] neg_lo:[0,0,1] neg_hi:[0,0,1]
	v_pk_fma_f16 v10, v10, 2.0, v4 op_sel_hi:[1,0,1] neg_lo:[0,0,1] neg_hi:[0,0,1]
	;; [unrolled: 1-line block ×4, first 2 shown]
	v_fmac_f16_e32 v36, 0xb9a8, v25
	v_add_f16_e32 v46, v41, v4
	v_fma_f16 v12, v12, 2.0, -v40
	v_fmac_f16_e32 v14, 0xb9a8, v34
	v_add_f16_e32 v15, v44, v15
	v_fma_f16 v13, v13, 2.0, -v43
	v_fmac_f16_e32 v45, 0x39a8, v35
	v_fma_f16 v23, v23, 2.0, -v22
	v_fma_f16 v33, v33, 2.0, -v38
	v_fmamk_f16 v34, v43, 0x39a8, v40
	v_fmac_f16_e32 v20, 0x39a8, v18
	v_fmac_f16_e32 v31, 0x39a8, v21
	v_pk_add_f16 v10, v8, v10 neg_lo:[0,1] neg_hi:[0,1]
	v_fmamk_f16 v4, v38, 0x3b64, v22
	v_fma_f16 v18, v37, 2.0, -v36
	v_fma_f16 v35, v41, 2.0, -v46
	;; [unrolled: 1-line block ×6, first 2 shown]
	v_fmamk_f16 v37, v13, 0xb9a8, v12
	v_fmamk_f16 v41, v33, 0xb61f, v23
	;; [unrolled: 1-line block ×3, first 2 shown]
	v_fmac_f16_e32 v34, 0xb9a8, v15
	v_fmamk_f16 v25, v45, 0x3b64, v42
	v_fma_f16 v15, v39, 2.0, -v20
	v_fma_f16 v32, v32, 2.0, -v31
	v_pk_add_f16 v11, v9, v11 neg_lo:[0,1] neg_hi:[0,1]
	v_lshrrev_b32_e32 v47, 16, v10
	v_fmac_f16_e32 v4, 0xb61f, v45
	v_fmamk_f16 v39, v17, 0xbb64, v18
	v_fmamk_f16 v45, v21, 0xb9a8, v35
	v_fmac_f16_e32 v37, 0xb9a8, v21
	v_fmamk_f16 v21, v19, 0xb61f, v16
	v_fmamk_f16 v48, v14, 0x361f, v36
	v_fmac_f16_e32 v41, 0xbb64, v19
	v_fmamk_f16 v19, v31, 0x361f, v20
	v_fmac_f16_e32 v25, 0x361f, v38
	v_fmamk_f16 v38, v32, 0xbb64, v15
	v_pk_fma_f16 v9, v9, 2.0, v11 op_sel_hi:[1,0,1] neg_lo:[0,0,1] neg_hi:[0,0,1]
	v_sub_f16_sdwa v44, v10, v11 dst_sel:DWORD dst_unused:UNUSED_PAD src0_sel:DWORD src1_sel:WORD_1
	v_add_f16_e32 v11, v47, v11
	v_fmac_f16_e32 v49, 0x39a8, v43
	v_fmac_f16_e32 v39, 0xb61f, v32
	;; [unrolled: 1-line block ×6, first 2 shown]
	v_pk_fma_f16 v8, v8, 2.0, v10 op_sel_hi:[1,0,1] neg_lo:[0,0,1] neg_hi:[0,0,1]
	v_fmac_f16_e32 v38, 0x361f, v17
	v_fma_f16 v10, v10, 2.0, -v44
	v_fma_f16 v31, v40, 2.0, -v34
	;; [unrolled: 1-line block ×13, first 2 shown]
	v_pk_add_f16 v9, v8, v9 neg_lo:[0,1] neg_hi:[0,1]
	v_fma_f16 v15, v15, 2.0, -v38
	v_pack_b32_f16 v11, v44, v11
	v_pack_b32_f16 v36, v4, v25
	;; [unrolled: 1-line block ×13, first 2 shown]
	v_pk_fma_f16 v8, v8, 2.0, v9 op_sel_hi:[1,0,1] neg_lo:[0,0,1] neg_hi:[0,0,1]
	v_pack_b32_f16 v15, v17, v15
	ds_write2_b32 v7, v34, v36 offset0:14 offset1:15
	ds_write2_b32 v7, v23, v22 offset0:6 offset1:7
	;; [unrolled: 1-line block ×7, first 2 shown]
	ds_write2_b32 v7, v8, v15 offset1:1
	s_waitcnt lgkmcnt(0)
	s_barrier
	buffer_gl0_inv
	ds_read2_b32 v[13:14], v0 offset1:80
	ds_read2_b32 v[11:12], v29 offset0:32 offset1:128
	ds_read2_b32 v[21:22], v24 offset1:80
	ds_read2_b32 v[15:16], v30 offset0:32 offset1:128
	;; [unrolled: 2-line block ×3, first 2 shown]
	ds_read2_b32 v[17:18], v27 offset0:80 offset1:160
	ds_read_b32 v40, v0 offset:4736
                                        ; implicit-def: $vgpr26
                                        ; implicit-def: $vgpr8
                                        ; implicit-def: $vgpr27
                                        ; implicit-def: $vgpr28
                                        ; implicit-def: $vgpr10
                                        ; implicit-def: $vgpr29
	s_and_saveexec_b32 s1, s0
	s_cbranch_execz .LBB0_21
; %bb.20:
	v_mad_i32_i24 v4, 0xffffffc4, v3, v7
	v_add_nc_u32_e32 v7, 0xc0, v4
	ds_read_b32 v4, v0 offset:960
	ds_read2st64_b32 v[9:10], v7 offset0:7 offset1:11
	ds_read2st64_b32 v[7:8], v7 offset0:15 offset1:19
	s_waitcnt lgkmcnt(2)
	v_lshrrev_b32_e32 v25, 16, v4
	s_waitcnt lgkmcnt(1)
	v_lshrrev_b32_e32 v29, 16, v9
	v_lshrrev_b32_e32 v28, 16, v10
	s_waitcnt lgkmcnt(0)
	v_lshrrev_b32_e32 v27, 16, v7
	v_lshrrev_b32_e32 v26, 16, v8
.LBB0_21:
	s_or_b32 exec_lo, exec_lo, s1
	v_lshlrev_b32_e32 v30, 4, v3
	v_and_b32_e32 v50, 15, v3
	v_add_nc_u32_e32 v51, 0x50, v3
	v_add_nc_u32_e32 v52, 0xa0, v3
	v_lshrrev_b32_e32 v53, 4, v3
	v_and_b32_e32 v37, 0xf0, v30
	v_lshlrev_b32_e32 v38, 4, v50
	v_lshrrev_b32_e32 v51, 4, v51
	v_lshrrev_b32_e32 v52, 4, v52
	v_mul_u32_u24_e32 v53, 0x50, v53
	s_clause 0x7
	global_load_dword v30, v37, s[12:13]
	global_load_dword v34, v37, s[12:13] offset:2
	global_load_dword v32, v37, s[12:13] offset:4
	global_load_dword v35, v37, s[12:13] offset:6
	global_load_dword v33, v37, s[12:13] offset:8
	global_load_dword v36, v37, s[12:13] offset:10
	global_load_dword v31, v37, s[12:13] offset:12
	global_load_ushort v42, v38, s[12:13]
	s_waitcnt lgkmcnt(6)
	v_lshrrev_b32_e32 v44, 16, v12
	s_waitcnt lgkmcnt(5)
	v_lshrrev_b32_e32 v45, 16, v21
	s_waitcnt lgkmcnt(4)
	v_lshrrev_b32_e32 v46, 16, v16
	s_waitcnt lgkmcnt(3)
	v_lshrrev_b32_e32 v47, 16, v23
	s_waitcnt lgkmcnt(2)
	v_lshrrev_b32_e32 v48, 16, v19
	v_lshrrev_b32_e32 v56, 16, v20
	v_mul_u32_u24_e32 v51, 0x50, v51
	v_mul_u32_u24_e32 v52, 0x50, v52
	v_or_b32_e32 v53, v53, v50
	v_lshrrev_b32_e32 v49, 16, v22
	s_waitcnt lgkmcnt(1)
	v_lshrrev_b32_e32 v54, 16, v17
	v_lshrrev_b32_e32 v55, 16, v24
	;; [unrolled: 1-line block ×3, first 2 shown]
	s_waitcnt lgkmcnt(0)
	v_lshrrev_b32_e32 v41, 16, v40
	v_lshrrev_b32_e32 v57, 16, v15
	v_or_b32_e32 v51, v51, v50
	v_or_b32_e32 v50, v52, v50
	v_lshl_add_u32 v52, v53, 2, 0
	v_lshrrev_b32_e32 v39, 16, v13
	v_lshrrev_b32_e32 v38, 16, v14
	;; [unrolled: 1-line block ×3, first 2 shown]
	v_lshl_add_u32 v51, v51, 2, 0
	s_waitcnt vmcnt(0)
	s_barrier
	buffer_gl0_inv
	v_lshl_add_u32 v50, v50, 2, 0
	v_mul_f16_sdwa v53, v30, v44 dst_sel:DWORD dst_unused:UNUSED_PAD src0_sel:WORD_1 src1_sel:DWORD
	v_mul_f16_sdwa v59, v30, v12 dst_sel:DWORD dst_unused:UNUSED_PAD src0_sel:WORD_1 src1_sel:DWORD
	v_lshrrev_b32_e32 v60, 16, v34
	v_mul_f16_sdwa v61, v32, v45 dst_sel:DWORD dst_unused:UNUSED_PAD src0_sel:WORD_1 src1_sel:DWORD
	v_mul_f16_sdwa v62, v32, v21 dst_sel:DWORD dst_unused:UNUSED_PAD src0_sel:WORD_1 src1_sel:DWORD
	v_lshrrev_b32_e32 v63, 16, v35
	v_mul_f16_sdwa v64, v33, v46 dst_sel:DWORD dst_unused:UNUSED_PAD src0_sel:WORD_1 src1_sel:DWORD
	v_mul_f16_sdwa v65, v33, v16 dst_sel:DWORD dst_unused:UNUSED_PAD src0_sel:WORD_1 src1_sel:DWORD
	v_lshrrev_b32_e32 v66, 16, v36
	v_mul_f16_sdwa v67, v31, v47 dst_sel:DWORD dst_unused:UNUSED_PAD src0_sel:WORD_1 src1_sel:DWORD
	v_mul_f16_sdwa v69, v30, v48 dst_sel:DWORD dst_unused:UNUSED_PAD src0_sel:WORD_1 src1_sel:DWORD
	;; [unrolled: 1-line block ×14, first 2 shown]
	v_mul_f16_sdwa v81, v43, v33 dst_sel:DWORD dst_unused:UNUSED_PAD src0_sel:DWORD src1_sel:WORD_1
	v_mul_f16_sdwa v82, v18, v33 dst_sel:DWORD dst_unused:UNUSED_PAD src0_sel:DWORD src1_sel:WORD_1
	;; [unrolled: 1-line block ×4, first 2 shown]
	v_fma_f16 v21, v60, v21, -v61
	v_fma_f16 v23, v66, v23, -v67
	v_fmac_f16_e32 v59, v42, v44
	v_fmac_f16_e32 v62, v60, v45
	;; [unrolled: 1-line block ×4, first 2 shown]
	v_fma_f16 v12, v42, v12, -v53
	v_fma_f16 v16, v63, v16, -v64
	;; [unrolled: 1-line block ×4, first 2 shown]
	v_fmac_f16_e32 v78, v42, v56
	v_fmac_f16_e32 v68, v66, v47
	v_fma_f16 v22, v60, v22, -v71
	v_fmac_f16_e32 v72, v60, v49
	v_fma_f16 v17, v63, v17, -v73
	;; [unrolled: 2-line block ×6, first 2 shown]
	v_fmac_f16_e32 v84, v41, v66
	v_sub_f16_e32 v41, v12, v21
	v_sub_f16_e32 v42, v23, v16
	;; [unrolled: 1-line block ×4, first 2 shown]
	v_add_f16_e32 v45, v39, v59
	v_add_f16_e32 v46, v62, v65
	;; [unrolled: 1-line block ×10, first 2 shown]
	v_sub_f16_e32 v47, v59, v62
	v_sub_f16_e32 v48, v68, v65
	;; [unrolled: 1-line block ×4, first 2 shown]
	v_add_f16_e32 v56, v22, v17
	v_add_f16_e32 v67, v72, v75
	;; [unrolled: 1-line block ×4, first 2 shown]
	v_sub_f16_e32 v57, v19, v22
	v_sub_f16_e32 v60, v24, v17
	;; [unrolled: 1-line block ×5, first 2 shown]
	v_add_f16_e32 v83, v15, v18
	v_add_f16_e32 v85, v20, v40
	v_sub_f16_e32 v87, v15, v20
	v_add_f16_e32 v91, v80, v82
	v_add_f16_e32 v92, v78, v84
	v_sub_f16_e32 v98, v21, v16
	v_sub_f16_e32 v99, v62, v65
	;; [unrolled: 1-line block ×6, first 2 shown]
	v_add_f16_e32 v41, v41, v42
	v_add_f16_e32 v42, v43, v44
	v_fma_f16 v44, -0.5, v46, v39
	v_add_f16_e32 v21, v96, v21
	v_add_f16_e32 v45, v45, v62
	;; [unrolled: 1-line block ×6, first 2 shown]
	v_fma_f16 v66, -0.5, v97, v13
	v_fmac_f16_e32 v39, -0.5, v49
	v_fma_f16 v13, -0.5, v104, v13
	v_sub_f16_e32 v69, v70, v72
	v_sub_f16_e32 v71, v76, v75
	;; [unrolled: 1-line block ×5, first 2 shown]
	v_add_f16_e32 v43, v47, v48
	v_add_f16_e32 v46, v53, v54
	v_fma_f16 v48, -0.5, v56, v14
	v_fma_f16 v54, -0.5, v67, v38
	v_sub_f16_e32 v101, v72, v75
	v_fmac_f16_e32 v14, -0.5, v61
	v_fmac_f16_e32 v38, -0.5, v73
	v_sub_f16_e32 v77, v75, v76
	v_sub_f16_e32 v81, v40, v18
	;; [unrolled: 1-line block ×8, first 2 shown]
	v_add_f16_e32 v47, v57, v60
	v_add_f16_e32 v49, v63, v64
	v_fma_f16 v60, -0.5, v83, v11
	v_fmac_f16_e32 v11, -0.5, v85
	v_fma_f16 v64, -0.5, v91, v58
	v_fmac_f16_e32 v58, -0.5, v92
	v_add_f16_e32 v16, v21, v16
	v_add_f16_e32 v21, v45, v65
	;; [unrolled: 1-line block ×4, first 2 shown]
	v_fmamk_f16 v45, v59, 0x3b9c, v66
	v_fmamk_f16 v62, v12, 0xbb9c, v44
	v_add_f16_e32 v17, v22, v17
	v_add_f16_e32 v22, v55, v75
	v_fmamk_f16 v55, v99, 0xbb9c, v13
	v_fmac_f16_e32 v13, 0x3b9c, v99
	v_fmamk_f16 v65, v98, 0x3b9c, v39
	v_fmac_f16_e32 v39, 0xbb9c, v98
	v_fmac_f16_e32 v66, 0xbb9c, v59
	;; [unrolled: 1-line block ×3, first 2 shown]
	v_add_f16_e32 v53, v69, v71
	v_fmamk_f16 v69, v70, 0x3b9c, v48
	v_fmamk_f16 v72, v19, 0xbb9c, v54
	;; [unrolled: 1-line block ×3, first 2 shown]
	v_fmac_f16_e32 v14, 0x3b9c, v101
	v_fmamk_f16 v73, v100, 0x3b9c, v38
	v_fmac_f16_e32 v38, 0xbb9c, v100
	v_sub_f16_e32 v90, v84, v82
	v_sub_f16_e32 v95, v82, v84
	v_add_f16_e32 v56, v74, v77
	v_add_f16_e32 v57, v79, v81
	v_fmac_f16_e32 v48, 0xbb9c, v70
	v_fmac_f16_e32 v54, 0x3b9c, v19
	v_fmamk_f16 v74, v78, 0x3b9c, v60
	v_fmac_f16_e32 v60, 0xbb9c, v78
	v_fmamk_f16 v75, v103, 0xbb9c, v11
	;; [unrolled: 2-line block ×4, first 2 shown]
	v_fmac_f16_e32 v58, 0xbb9c, v102
	v_fmac_f16_e32 v45, 0x38b4, v99
	;; [unrolled: 1-line block ×15, first 2 shown]
	v_add_f16_e32 v61, v87, v88
	v_add_f16_e32 v63, v89, v90
	;; [unrolled: 1-line block ×6, first 2 shown]
	v_fmac_f16_e32 v48, 0xb8b4, v101
	v_add_f16_e32 v17, v22, v76
	v_fmac_f16_e32 v54, 0x38b4, v100
	v_fmac_f16_e32 v74, 0x38b4, v103
	;; [unrolled: 1-line block ×11, first 2 shown]
	v_add_f16_e32 v15, v15, v40
	v_add_f16_e32 v18, v18, v84
	v_fmac_f16_e32 v55, 0x34f2, v42
	v_fmac_f16_e32 v13, 0x34f2, v42
	;; [unrolled: 1-line block ×22, first 2 shown]
	v_pack_b32_f16 v16, v16, v21
	v_pack_b32_f16 v12, v12, v17
	v_pack_b32_f16 v17, v45, v62
	v_pack_b32_f16 v15, v15, v18
	v_pack_b32_f16 v18, v55, v65
	v_pack_b32_f16 v13, v13, v39
	v_pack_b32_f16 v19, v66, v44
	v_pack_b32_f16 v20, v69, v72
	v_pack_b32_f16 v21, v71, v73
	v_pack_b32_f16 v14, v14, v38
	v_pack_b32_f16 v22, v48, v54
	v_pack_b32_f16 v23, v74, v77
	v_pack_b32_f16 v24, v75, v79
	v_pack_b32_f16 v11, v11, v58
	v_pack_b32_f16 v38, v60, v64
	ds_write2_b32 v52, v16, v17 offset1:16
	ds_write2_b32 v52, v18, v13 offset0:32 offset1:48
	ds_write_b32 v52, v19 offset:256
	ds_write2_b32 v51, v12, v20 offset1:16
	ds_write2_b32 v51, v21, v14 offset0:32 offset1:48
	ds_write_b32 v51, v22 offset:256
	;; [unrolled: 3-line block ×3, first 2 shown]
	s_and_saveexec_b32 s1, s0
	s_cbranch_execz .LBB0_23
; %bb.22:
	v_add_co_u32 v11, s0, s12, v37
	v_add_co_ci_u32_e64 v12, null, s13, 0, s0
	v_mul_f16_e32 v15, v29, v34
	v_add_co_u32 v11, s0, v11, 12
	v_add_co_ci_u32_e64 v12, s0, 0, v12, s0
	v_mul_f16_e32 v14, v9, v34
	v_mul_f16_e32 v16, v28, v35
	v_fma_f16 v9, v9, v30, -v15
	global_load_ushort v11, v[11:12], off offset:2
	v_mul_f16_e32 v12, v7, v36
	v_mul_f16_e32 v13, v10, v35
	;; [unrolled: 1-line block ×3, first 2 shown]
	v_fmac_f16_e32 v14, v29, v30
	v_fma_f16 v10, v10, v32, -v16
	v_add_f16_e32 v16, v4, v9
	v_fmac_f16_e32 v13, v28, v32
	v_fma_f16 v7, v7, v33, -v17
	v_fmac_f16_e32 v12, v27, v33
	v_add_f16_e32 v15, v25, v14
	v_add_f16_e32 v16, v16, v10
	v_sub_f16_e32 v17, v13, v14
	v_sub_f16_e32 v19, v10, v7
	;; [unrolled: 1-line block ×3, first 2 shown]
	v_add_f16_e32 v21, v13, v12
	v_add_f16_e32 v15, v15, v13
	v_sub_f16_e32 v23, v10, v9
	v_add_f16_e32 v16, v16, v7
	v_add_nc_u32_e32 v18, 0x1000, v0
	v_add_f16_e32 v15, v15, v12
	s_waitcnt vmcnt(0)
	v_mul_f16_e32 v22, v8, v11
	v_mul_f16_e32 v11, v26, v11
	v_fmac_f16_e32 v22, v26, v31
	v_fma_f16 v8, v8, v31, -v11
	v_sub_f16_e32 v11, v13, v12
	v_sub_f16_e32 v13, v9, v10
	v_add_f16_e32 v10, v10, v7
	v_sub_f16_e32 v24, v12, v22
	v_sub_f16_e32 v26, v9, v8
	v_add_f16_e32 v27, v14, v22
	v_add_f16_e32 v9, v9, v8
	;; [unrolled: 1-line block ×3, first 2 shown]
	v_sub_f16_e32 v28, v7, v8
	v_sub_f16_e32 v14, v14, v22
	;; [unrolled: 1-line block ×3, first 2 shown]
	v_add_f16_e32 v8, v17, v24
	v_fma_f16 v17, -0.5, v27, v25
	v_fmac_f16_e32 v25, -0.5, v21
	v_fma_f16 v9, -0.5, v9, v4
	v_fmac_f16_e32 v4, -0.5, v10
	v_add_f16_e32 v15, v15, v22
	v_sub_f16_e32 v12, v22, v12
	v_add_f16_e32 v7, v13, v7
	v_fmamk_f16 v13, v26, 0x3b9c, v25
	v_fmac_f16_e32 v25, 0xbb9c, v26
	v_fmamk_f16 v22, v14, 0xbb9c, v4
	v_fmac_f16_e32 v4, 0x3b9c, v14
	;; [unrolled: 2-line block ×4, first 2 shown]
	v_add_f16_e32 v12, v20, v12
	v_fmac_f16_e32 v25, 0xb8b4, v19
	v_fmac_f16_e32 v4, 0x38b4, v11
	v_add_f16_e32 v20, v23, v28
	v_fmac_f16_e32 v10, 0x38b4, v26
	v_fmac_f16_e32 v17, 0xb8b4, v26
	;; [unrolled: 1-line block ×14, first 2 shown]
	v_pack_b32_f16 v7, v16, v15
	v_pack_b32_f16 v4, v4, v25
	;; [unrolled: 1-line block ×5, first 2 shown]
	ds_write2_b32 v18, v7, v4 offset0:176 offset1:192
	ds_write2_b32 v18, v8, v9 offset0:208 offset1:224
	ds_write_b32 v0, v10 offset:5056
.LBB0_23:
	s_or_b32 exec_lo, exec_lo, s1
	v_mul_u32_u24_e32 v4, 15, v3
	s_waitcnt lgkmcnt(0)
	s_barrier
	buffer_gl0_inv
	v_add_nc_u32_e32 v39, 0x800, v0
	v_lshlrev_b32_e32 v4, 2, v4
	v_add_nc_u32_e32 v40, 0xc00, v0
	v_add_nc_u32_e32 v38, 0x600, v0
	;; [unrolled: 1-line block ×4, first 2 shown]
	s_clause 0x3
	global_load_dwordx4 v[7:10], v4, s[12:13] offset:256
	global_load_dwordx4 v[11:14], v4, s[12:13] offset:272
	;; [unrolled: 1-line block ×3, first 2 shown]
	global_load_dwordx3 v[19:21], v4, s[12:13] offset:304
	v_add_nc_u32_e32 v4, 0x400, v0
	ds_read2_b32 v[22:23], v0 offset1:80
	ds_read2_b32 v[24:25], v0 offset0:160 offset1:240
	ds_read2_b32 v[26:27], v4 offset0:64 offset1:144
	;; [unrolled: 1-line block ×7, first 2 shown]
	s_waitcnt vmcnt(0) lgkmcnt(0)
	s_barrier
	buffer_gl0_inv
	v_lshrrev_b32_e32 v43, 16, v23
	v_lshrrev_b32_e32 v44, 16, v24
	;; [unrolled: 1-line block ×16, first 2 shown]
	v_mul_f16_sdwa v59, v7, v43 dst_sel:DWORD dst_unused:UNUSED_PAD src0_sel:WORD_1 src1_sel:DWORD
	v_mul_f16_sdwa v60, v7, v23 dst_sel:DWORD dst_unused:UNUSED_PAD src0_sel:WORD_1 src1_sel:DWORD
	;; [unrolled: 1-line block ×8, first 2 shown]
	v_mul_f16_sdwa v67, v47, v11 dst_sel:DWORD dst_unused:UNUSED_PAD src0_sel:DWORD src1_sel:WORD_1
	v_mul_f16_sdwa v68, v27, v11 dst_sel:DWORD dst_unused:UNUSED_PAD src0_sel:DWORD src1_sel:WORD_1
	v_mul_f16_sdwa v69, v48, v12 dst_sel:DWORD dst_unused:UNUSED_PAD src0_sel:DWORD src1_sel:WORD_1
	v_mul_f16_sdwa v70, v28, v12 dst_sel:DWORD dst_unused:UNUSED_PAD src0_sel:DWORD src1_sel:WORD_1
	v_mul_f16_sdwa v71, v49, v13 dst_sel:DWORD dst_unused:UNUSED_PAD src0_sel:DWORD src1_sel:WORD_1
	v_mul_f16_sdwa v72, v29, v13 dst_sel:DWORD dst_unused:UNUSED_PAD src0_sel:DWORD src1_sel:WORD_1
	v_mul_f16_sdwa v73, v50, v14 dst_sel:DWORD dst_unused:UNUSED_PAD src0_sel:DWORD src1_sel:WORD_1
	v_mul_f16_sdwa v74, v30, v14 dst_sel:DWORD dst_unused:UNUSED_PAD src0_sel:DWORD src1_sel:WORD_1
	v_mul_f16_sdwa v75, v51, v15 dst_sel:DWORD dst_unused:UNUSED_PAD src0_sel:DWORD src1_sel:WORD_1
	v_mul_f16_sdwa v76, v31, v15 dst_sel:DWORD dst_unused:UNUSED_PAD src0_sel:DWORD src1_sel:WORD_1
	v_mul_f16_sdwa v77, v52, v16 dst_sel:DWORD dst_unused:UNUSED_PAD src0_sel:DWORD src1_sel:WORD_1
	v_mul_f16_sdwa v78, v32, v16 dst_sel:DWORD dst_unused:UNUSED_PAD src0_sel:DWORD src1_sel:WORD_1
	v_mul_f16_sdwa v79, v53, v17 dst_sel:DWORD dst_unused:UNUSED_PAD src0_sel:DWORD src1_sel:WORD_1
	v_mul_f16_sdwa v80, v33, v17 dst_sel:DWORD dst_unused:UNUSED_PAD src0_sel:DWORD src1_sel:WORD_1
	v_mul_f16_sdwa v81, v54, v18 dst_sel:DWORD dst_unused:UNUSED_PAD src0_sel:DWORD src1_sel:WORD_1
	v_mul_f16_sdwa v82, v34, v18 dst_sel:DWORD dst_unused:UNUSED_PAD src0_sel:DWORD src1_sel:WORD_1
	v_mul_f16_sdwa v83, v55, v19 dst_sel:DWORD dst_unused:UNUSED_PAD src0_sel:DWORD src1_sel:WORD_1
	v_mul_f16_sdwa v84, v35, v19 dst_sel:DWORD dst_unused:UNUSED_PAD src0_sel:DWORD src1_sel:WORD_1
	v_mul_f16_sdwa v85, v56, v20 dst_sel:DWORD dst_unused:UNUSED_PAD src0_sel:DWORD src1_sel:WORD_1
	v_mul_f16_sdwa v86, v36, v20 dst_sel:DWORD dst_unused:UNUSED_PAD src0_sel:DWORD src1_sel:WORD_1
	v_mul_f16_sdwa v87, v57, v21 dst_sel:DWORD dst_unused:UNUSED_PAD src0_sel:DWORD src1_sel:WORD_1
	v_mul_f16_sdwa v88, v37, v21 dst_sel:DWORD dst_unused:UNUSED_PAD src0_sel:DWORD src1_sel:WORD_1
	v_fma_f16 v23, v7, v23, -v59
	v_fmac_f16_e32 v60, v7, v43
	v_fma_f16 v7, v8, v24, -v61
	v_fmac_f16_e32 v62, v8, v44
	;; [unrolled: 2-line block ×15, first 2 shown]
	v_sub_f16_e32 v13, v22, v13
	v_sub_f16_e32 v21, v46, v74
	;; [unrolled: 1-line block ×16, first 2 shown]
	v_fma_f16 v22, v22, 2.0, -v13
	v_fma_f16 v31, v46, 2.0, -v21
	;; [unrolled: 1-line block ×16, first 2 shown]
	v_sub_f16_e32 v24, v13, v24
	v_add_f16_e32 v17, v21, v17
	v_sub_f16_e32 v26, v15, v26
	v_add_f16_e32 v19, v25, v19
	;; [unrolled: 2-line block ×4, first 2 shown]
	v_sub_f16_e32 v9, v22, v9
	v_sub_f16_e32 v32, v31, v32
	v_fma_f16 v13, v13, 2.0, -v24
	v_fma_f16 v21, v21, 2.0, -v17
	v_sub_f16_e32 v11, v7, v11
	v_sub_f16_e32 v34, v33, v34
	v_fma_f16 v15, v15, 2.0, -v26
	v_fma_f16 v25, v25, 2.0, -v19
	;; [unrolled: 4-line block ×4, first 2 shown]
	v_fmamk_f16 v44, v26, 0x39a8, v24
	v_fmamk_f16 v45, v19, 0x39a8, v17
	;; [unrolled: 1-line block ×4, first 2 shown]
	v_fma_f16 v22, v22, 2.0, -v9
	v_fma_f16 v31, v31, 2.0, -v32
	;; [unrolled: 1-line block ×8, first 2 shown]
	v_fmamk_f16 v48, v15, 0xb9a8, v13
	v_fmamk_f16 v49, v25, 0xb9a8, v21
	v_fmac_f16_e32 v44, 0xb9a8, v19
	v_fmac_f16_e32 v45, 0x39a8, v26
	v_fmamk_f16 v19, v16, 0xb9a8, v14
	v_fmamk_f16 v26, v29, 0xb9a8, v27
	v_sub_f16_e32 v34, v9, v34
	v_add_f16_e32 v11, v32, v11
	v_sub_f16_e32 v43, v10, v43
	v_add_f16_e32 v12, v36, v12
	v_fmac_f16_e32 v46, 0xb9a8, v20
	v_fmac_f16_e32 v47, 0x39a8, v30
	v_sub_f16_e32 v7, v22, v7
	v_sub_f16_e32 v20, v31, v33
	v_fmac_f16_e32 v48, 0xb9a8, v25
	v_fmac_f16_e32 v49, 0x39a8, v15
	v_sub_f16_e32 v8, v23, v8
	v_sub_f16_e32 v25, v35, v37
	v_fmac_f16_e32 v19, 0xb9a8, v29
	v_fmac_f16_e32 v26, 0x39a8, v16
	v_fma_f16 v9, v9, 2.0, -v34
	v_fma_f16 v15, v32, 2.0, -v11
	;; [unrolled: 1-line block ×8, first 2 shown]
	v_fmamk_f16 v29, v43, 0x39a8, v34
	v_fmamk_f16 v30, v12, 0x39a8, v11
	;; [unrolled: 1-line block ×4, first 2 shown]
	v_fma_f16 v22, v22, 2.0, -v7
	v_fma_f16 v31, v31, 2.0, -v20
	;; [unrolled: 1-line block ×8, first 2 shown]
	v_fmamk_f16 v36, v10, 0xb9a8, v9
	v_fmamk_f16 v37, v16, 0xb9a8, v15
	;; [unrolled: 1-line block ×6, first 2 shown]
	v_sub_f16_e32 v25, v7, v25
	v_add_f16_e32 v8, v20, v8
	v_fmac_f16_e32 v29, 0xb9a8, v12
	v_fmac_f16_e32 v30, 0x39a8, v43
	;; [unrolled: 1-line block ×4, first 2 shown]
	v_sub_f16_e32 v12, v22, v23
	v_sub_f16_e32 v23, v31, v35
	v_fmamk_f16 v35, v14, 0xbb64, v13
	v_fmamk_f16 v43, v27, 0xbb64, v21
	v_fmac_f16_e32 v36, 0xb9a8, v16
	v_fmac_f16_e32 v37, 0x39a8, v10
	;; [unrolled: 1-line block ×6, first 2 shown]
	v_fma_f16 v7, v7, 2.0, -v25
	v_fma_f16 v10, v20, 2.0, -v8
	;; [unrolled: 1-line block ×6, first 2 shown]
	v_pack_b32_f16 v8, v25, v8
	v_pack_b32_f16 v20, v29, v30
	;; [unrolled: 1-line block ×3, first 2 shown]
	v_fmac_f16_e32 v35, 0xb61f, v27
	v_fmac_f16_e32 v43, 0x361f, v14
	v_fma_f16 v9, v9, 2.0, -v36
	v_fma_f16 v14, v15, 2.0, -v37
	;; [unrolled: 1-line block ×6, first 2 shown]
	v_pack_b32_f16 v7, v7, v10
	v_pack_b32_f16 v10, v16, v11
	;; [unrolled: 1-line block ×3, first 2 shown]
	v_fma_f16 v22, v22, 2.0, -v12
	v_fma_f16 v26, v31, 2.0, -v23
	ds_write2_b32 v42, v20, v25 offset0:96 offset1:176
	v_fma_f16 v13, v13, 2.0, -v35
	v_fma_f16 v20, v21, 2.0, -v43
	v_pack_b32_f16 v16, v36, v37
	v_pack_b32_f16 v18, v50, v51
	v_pack_b32_f16 v19, v52, v53
	v_pack_b32_f16 v9, v9, v14
	v_pack_b32_f16 v14, v15, v17
	v_pack_b32_f16 v15, v24, v27
	v_pack_b32_f16 v12, v12, v23
	ds_write2_b32 v38, v10, v11 offset0:96 offset1:176
	v_pack_b32_f16 v10, v35, v43
	v_pack_b32_f16 v21, v22, v26
	;; [unrolled: 1-line block ×3, first 2 shown]
	ds_write2_b32 v40, v16, v18 offset0:32 offset1:112
	ds_write2_b32 v41, v8, v19 offset0:64 offset1:144
	;; [unrolled: 1-line block ×5, first 2 shown]
	ds_write2_b32 v0, v21, v11 offset1:80
	s_waitcnt lgkmcnt(0)
	s_barrier
	buffer_gl0_inv
	s_and_saveexec_b32 s0, vcc_lo
	s_cbranch_execz .LBB0_25
; %bb.24:
	v_mul_lo_u32 v0, s3, v5
	v_mul_lo_u32 v7, s2, v6
	v_mad_u64_u32 v[5:6], null, s2, v5, 0
	v_lshl_add_u32 v19, v3, 2, 0
	v_mov_b32_e32 v4, 0
	v_add_nc_u32_e32 v9, 0xa0, v3
	ds_read2_b32 v[11:12], v19 offset1:80
	v_add3_u32 v6, v6, v7, v0
	v_lshlrev_b64 v[0:1], 2, v[1:2]
	v_add_nc_u32_e32 v7, 0x50, v3
	v_mov_b32_e32 v8, v4
	ds_read2_b32 v[15:16], v19 offset0:160 offset1:240
	v_lshlrev_b64 v[5:6], 2, v[5:6]
	v_lshlrev_b64 v[13:14], 2, v[3:4]
	v_mov_b32_e32 v10, v4
	v_mov_b32_e32 v18, v4
	v_add_co_u32 v2, vcc_lo, s10, v5
	v_add_co_ci_u32_e32 v17, vcc_lo, s11, v6, vcc_lo
	v_lshlrev_b64 v[5:6], 2, v[7:8]
	v_add_co_u32 v20, vcc_lo, v2, v0
	v_add_co_ci_u32_e32 v21, vcc_lo, v17, v1, vcc_lo
	v_lshlrev_b64 v[0:1], 2, v[9:10]
	v_add_co_u32 v7, vcc_lo, v20, v13
	v_add_co_ci_u32_e32 v8, vcc_lo, v21, v14, vcc_lo
	v_add_co_u32 v5, vcc_lo, v20, v5
	v_add_co_ci_u32_e32 v6, vcc_lo, v21, v6, vcc_lo
	;; [unrolled: 2-line block ×3, first 2 shown]
	v_add_nc_u32_e32 v9, 0xf0, v3
	v_add_nc_u32_e32 v2, 0x400, v19
	s_waitcnt lgkmcnt(1)
	global_store_dword v[7:8], v11, off
	global_store_dword v[5:6], v12, off
	s_waitcnt lgkmcnt(0)
	global_store_dword v[0:1], v15, off
	v_add_nc_u32_e32 v12, 0x600, v19
	v_add_nc_u32_e32 v5, 0x140, v3
	v_mov_b32_e32 v6, v4
	v_lshlrev_b64 v[0:1], 2, v[9:10]
	ds_read2_b32 v[9:10], v2 offset0:64 offset1:144
	v_add_nc_u32_e32 v7, 0x190, v3
	v_mov_b32_e32 v8, v4
	ds_read2_b32 v[13:14], v12 offset0:96 offset1:176
	v_lshlrev_b64 v[5:6], 2, v[5:6]
	v_add_nc_u32_e32 v11, 0x1e0, v3
	v_mov_b32_e32 v12, v4
	v_add_co_u32 v0, vcc_lo, v20, v0
	v_lshlrev_b64 v[7:8], 2, v[7:8]
	v_add_co_ci_u32_e32 v1, vcc_lo, v21, v1, vcc_lo
	v_add_co_u32 v5, vcc_lo, v20, v5
	v_lshlrev_b64 v[11:12], 2, v[11:12]
	v_add_co_ci_u32_e32 v6, vcc_lo, v21, v6, vcc_lo
	v_add_co_u32 v7, vcc_lo, v20, v7
	v_add_co_ci_u32_e32 v8, vcc_lo, v21, v8, vcc_lo
	v_add_co_u32 v11, vcc_lo, v20, v11
	v_add_co_ci_u32_e32 v12, vcc_lo, v21, v12, vcc_lo
	v_add_nc_u32_e32 v17, 0x230, v3
	v_add_nc_u32_e32 v2, 0x800, v19
	global_store_dword v[0:1], v16, off
	s_waitcnt lgkmcnt(1)
	global_store_dword v[5:6], v9, off
	global_store_dword v[7:8], v10, off
	s_waitcnt lgkmcnt(0)
	global_store_dword v[11:12], v13, off
	v_add_nc_u32_e32 v12, 0xc00, v19
	v_add_nc_u32_e32 v5, 0x280, v3
	v_mov_b32_e32 v6, v4
	v_lshlrev_b64 v[0:1], 2, v[17:18]
	ds_read2_b32 v[9:10], v2 offset0:128 offset1:208
	v_add_nc_u32_e32 v7, 0x2d0, v3
	v_mov_b32_e32 v8, v4
	ds_read2_b32 v[15:16], v12 offset0:32 offset1:112
	v_lshlrev_b64 v[5:6], 2, v[5:6]
	v_add_nc_u32_e32 v11, 0x320, v3
	v_mov_b32_e32 v12, v4
	v_add_co_u32 v0, vcc_lo, v20, v0
	v_lshlrev_b64 v[7:8], 2, v[7:8]
	v_add_co_ci_u32_e32 v1, vcc_lo, v21, v1, vcc_lo
	v_add_co_u32 v5, vcc_lo, v20, v5
	v_lshlrev_b64 v[11:12], 2, v[11:12]
	v_add_co_ci_u32_e32 v6, vcc_lo, v21, v6, vcc_lo
	v_add_co_u32 v7, vcc_lo, v20, v7
	v_add_co_ci_u32_e32 v8, vcc_lo, v21, v8, vcc_lo
	v_add_co_u32 v11, vcc_lo, v20, v11
	v_add_nc_u32_e32 v2, 0xe00, v19
	v_add_nc_u32_e32 v17, 0x370, v3
	v_add_co_ci_u32_e32 v12, vcc_lo, v21, v12, vcc_lo
	global_store_dword v[0:1], v14, off
	s_waitcnt lgkmcnt(1)
	global_store_dword v[5:6], v9, off
	global_store_dword v[7:8], v10, off
	s_waitcnt lgkmcnt(0)
	global_store_dword v[11:12], v15, off
	v_add_nc_u32_e32 v5, 0x3c0, v3
	v_mov_b32_e32 v6, v4
	ds_read2_b32 v[9:10], v2 offset0:64 offset1:144
	v_add_nc_u32_e32 v2, 0x1000, v19
	v_lshlrev_b64 v[0:1], 2, v[17:18]
	v_add_nc_u32_e32 v7, 0x410, v3
	v_mov_b32_e32 v8, v4
	v_lshlrev_b64 v[5:6], 2, v[5:6]
	v_add_nc_u32_e32 v11, 0x460, v3
	v_mov_b32_e32 v12, v4
	ds_read2_b32 v[13:14], v2 offset0:96 offset1:176
	v_add_co_u32 v0, vcc_lo, v20, v0
	v_lshlrev_b64 v[7:8], 2, v[7:8]
	v_add_nc_u32_e32 v3, 0x4b0, v3
	v_add_co_ci_u32_e32 v1, vcc_lo, v21, v1, vcc_lo
	v_add_co_u32 v5, vcc_lo, v20, v5
	v_lshlrev_b64 v[11:12], 2, v[11:12]
	v_add_co_ci_u32_e32 v6, vcc_lo, v21, v6, vcc_lo
	v_add_co_u32 v7, vcc_lo, v20, v7
	v_lshlrev_b64 v[2:3], 2, v[3:4]
	v_add_co_ci_u32_e32 v8, vcc_lo, v21, v8, vcc_lo
	v_add_co_u32 v11, vcc_lo, v20, v11
	v_add_co_ci_u32_e32 v12, vcc_lo, v21, v12, vcc_lo
	v_add_co_u32 v2, vcc_lo, v20, v2
	v_add_co_ci_u32_e32 v3, vcc_lo, v21, v3, vcc_lo
	global_store_dword v[0:1], v16, off
	s_waitcnt lgkmcnt(1)
	global_store_dword v[5:6], v9, off
	global_store_dword v[7:8], v10, off
	s_waitcnt lgkmcnt(0)
	global_store_dword v[11:12], v13, off
	global_store_dword v[2:3], v14, off
.LBB0_25:
	s_endpgm
	.section	.rodata,"a",@progbits
	.p2align	6, 0x0
	.amdhsa_kernel fft_rtc_fwd_len1280_factors_16_5_16_wgs_80_tpt_80_halfLds_half_op_CI_CI_unitstride_sbrr_C2R_dirReg
		.amdhsa_group_segment_fixed_size 0
		.amdhsa_private_segment_fixed_size 0
		.amdhsa_kernarg_size 104
		.amdhsa_user_sgpr_count 6
		.amdhsa_user_sgpr_private_segment_buffer 1
		.amdhsa_user_sgpr_dispatch_ptr 0
		.amdhsa_user_sgpr_queue_ptr 0
		.amdhsa_user_sgpr_kernarg_segment_ptr 1
		.amdhsa_user_sgpr_dispatch_id 0
		.amdhsa_user_sgpr_flat_scratch_init 0
		.amdhsa_user_sgpr_private_segment_size 0
		.amdhsa_wavefront_size32 1
		.amdhsa_uses_dynamic_stack 0
		.amdhsa_system_sgpr_private_segment_wavefront_offset 0
		.amdhsa_system_sgpr_workgroup_id_x 1
		.amdhsa_system_sgpr_workgroup_id_y 0
		.amdhsa_system_sgpr_workgroup_id_z 0
		.amdhsa_system_sgpr_workgroup_info 0
		.amdhsa_system_vgpr_workitem_id 0
		.amdhsa_next_free_vgpr 105
		.amdhsa_next_free_sgpr 27
		.amdhsa_reserve_vcc 1
		.amdhsa_reserve_flat_scratch 0
		.amdhsa_float_round_mode_32 0
		.amdhsa_float_round_mode_16_64 0
		.amdhsa_float_denorm_mode_32 3
		.amdhsa_float_denorm_mode_16_64 3
		.amdhsa_dx10_clamp 1
		.amdhsa_ieee_mode 1
		.amdhsa_fp16_overflow 0
		.amdhsa_workgroup_processor_mode 1
		.amdhsa_memory_ordered 1
		.amdhsa_forward_progress 0
		.amdhsa_shared_vgpr_count 0
		.amdhsa_exception_fp_ieee_invalid_op 0
		.amdhsa_exception_fp_denorm_src 0
		.amdhsa_exception_fp_ieee_div_zero 0
		.amdhsa_exception_fp_ieee_overflow 0
		.amdhsa_exception_fp_ieee_underflow 0
		.amdhsa_exception_fp_ieee_inexact 0
		.amdhsa_exception_int_div_zero 0
	.end_amdhsa_kernel
	.text
.Lfunc_end0:
	.size	fft_rtc_fwd_len1280_factors_16_5_16_wgs_80_tpt_80_halfLds_half_op_CI_CI_unitstride_sbrr_C2R_dirReg, .Lfunc_end0-fft_rtc_fwd_len1280_factors_16_5_16_wgs_80_tpt_80_halfLds_half_op_CI_CI_unitstride_sbrr_C2R_dirReg
                                        ; -- End function
	.section	.AMDGPU.csdata,"",@progbits
; Kernel info:
; codeLenInByte = 9680
; NumSgprs: 29
; NumVgprs: 105
; ScratchSize: 0
; MemoryBound: 0
; FloatMode: 240
; IeeeMode: 1
; LDSByteSize: 0 bytes/workgroup (compile time only)
; SGPRBlocks: 3
; VGPRBlocks: 13
; NumSGPRsForWavesPerEU: 29
; NumVGPRsForWavesPerEU: 105
; Occupancy: 9
; WaveLimiterHint : 1
; COMPUTE_PGM_RSRC2:SCRATCH_EN: 0
; COMPUTE_PGM_RSRC2:USER_SGPR: 6
; COMPUTE_PGM_RSRC2:TRAP_HANDLER: 0
; COMPUTE_PGM_RSRC2:TGID_X_EN: 1
; COMPUTE_PGM_RSRC2:TGID_Y_EN: 0
; COMPUTE_PGM_RSRC2:TGID_Z_EN: 0
; COMPUTE_PGM_RSRC2:TIDIG_COMP_CNT: 0
	.text
	.p2alignl 6, 3214868480
	.fill 48, 4, 3214868480
	.type	__hip_cuid_6632764854e7a732,@object ; @__hip_cuid_6632764854e7a732
	.section	.bss,"aw",@nobits
	.globl	__hip_cuid_6632764854e7a732
__hip_cuid_6632764854e7a732:
	.byte	0                               ; 0x0
	.size	__hip_cuid_6632764854e7a732, 1

	.ident	"AMD clang version 19.0.0git (https://github.com/RadeonOpenCompute/llvm-project roc-6.4.0 25133 c7fe45cf4b819c5991fe208aaa96edf142730f1d)"
	.section	".note.GNU-stack","",@progbits
	.addrsig
	.addrsig_sym __hip_cuid_6632764854e7a732
	.amdgpu_metadata
---
amdhsa.kernels:
  - .args:
      - .actual_access:  read_only
        .address_space:  global
        .offset:         0
        .size:           8
        .value_kind:     global_buffer
      - .offset:         8
        .size:           8
        .value_kind:     by_value
      - .actual_access:  read_only
        .address_space:  global
        .offset:         16
        .size:           8
        .value_kind:     global_buffer
      - .actual_access:  read_only
        .address_space:  global
        .offset:         24
        .size:           8
        .value_kind:     global_buffer
      - .actual_access:  read_only
        .address_space:  global
        .offset:         32
        .size:           8
        .value_kind:     global_buffer
      - .offset:         40
        .size:           8
        .value_kind:     by_value
      - .actual_access:  read_only
        .address_space:  global
        .offset:         48
        .size:           8
        .value_kind:     global_buffer
      - .actual_access:  read_only
        .address_space:  global
        .offset:         56
        .size:           8
        .value_kind:     global_buffer
      - .offset:         64
        .size:           4
        .value_kind:     by_value
      - .actual_access:  read_only
        .address_space:  global
        .offset:         72
        .size:           8
        .value_kind:     global_buffer
      - .actual_access:  read_only
        .address_space:  global
        .offset:         80
        .size:           8
        .value_kind:     global_buffer
      - .actual_access:  read_only
        .address_space:  global
        .offset:         88
        .size:           8
        .value_kind:     global_buffer
      - .actual_access:  write_only
        .address_space:  global
        .offset:         96
        .size:           8
        .value_kind:     global_buffer
    .group_segment_fixed_size: 0
    .kernarg_segment_align: 8
    .kernarg_segment_size: 104
    .language:       OpenCL C
    .language_version:
      - 2
      - 0
    .max_flat_workgroup_size: 80
    .name:           fft_rtc_fwd_len1280_factors_16_5_16_wgs_80_tpt_80_halfLds_half_op_CI_CI_unitstride_sbrr_C2R_dirReg
    .private_segment_fixed_size: 0
    .sgpr_count:     29
    .sgpr_spill_count: 0
    .symbol:         fft_rtc_fwd_len1280_factors_16_5_16_wgs_80_tpt_80_halfLds_half_op_CI_CI_unitstride_sbrr_C2R_dirReg.kd
    .uniform_work_group_size: 1
    .uses_dynamic_stack: false
    .vgpr_count:     105
    .vgpr_spill_count: 0
    .wavefront_size: 32
    .workgroup_processor_mode: 1
amdhsa.target:   amdgcn-amd-amdhsa--gfx1030
amdhsa.version:
  - 1
  - 2
...

	.end_amdgpu_metadata
